;; amdgpu-corpus repo=ROCm/rocFFT kind=compiled arch=gfx1100 opt=O3
	.text
	.amdgcn_target "amdgcn-amd-amdhsa--gfx1100"
	.amdhsa_code_object_version 6
	.protected	fft_rtc_fwd_len1728_factors_3_6_6_16_wgs_108_tpt_108_halfLds_dp_op_CI_CI_unitstride_sbrr_dirReg ; -- Begin function fft_rtc_fwd_len1728_factors_3_6_6_16_wgs_108_tpt_108_halfLds_dp_op_CI_CI_unitstride_sbrr_dirReg
	.globl	fft_rtc_fwd_len1728_factors_3_6_6_16_wgs_108_tpt_108_halfLds_dp_op_CI_CI_unitstride_sbrr_dirReg
	.p2align	8
	.type	fft_rtc_fwd_len1728_factors_3_6_6_16_wgs_108_tpt_108_halfLds_dp_op_CI_CI_unitstride_sbrr_dirReg,@function
fft_rtc_fwd_len1728_factors_3_6_6_16_wgs_108_tpt_108_halfLds_dp_op_CI_CI_unitstride_sbrr_dirReg: ; @fft_rtc_fwd_len1728_factors_3_6_6_16_wgs_108_tpt_108_halfLds_dp_op_CI_CI_unitstride_sbrr_dirReg
; %bb.0:
	s_clause 0x2
	s_load_b128 s[8:11], s[0:1], 0x0
	s_load_b128 s[4:7], s[0:1], 0x58
	;; [unrolled: 1-line block ×3, first 2 shown]
	v_mul_u32_u24_e32 v1, 0x25f, v0
	v_mov_b32_e32 v4, 0
	v_mov_b32_e32 v5, 0
	s_delay_alu instid0(VALU_DEP_3) | instskip(NEXT) | instid1(VALU_DEP_1)
	v_lshrrev_b32_e32 v2, 16, v1
	v_dual_mov_b32 v1, 0 :: v_dual_add_nc_u32 v6, s15, v2
	s_delay_alu instid0(VALU_DEP_1) | instskip(SKIP_2) | instid1(VALU_DEP_1)
	v_mov_b32_e32 v7, v1
	s_waitcnt lgkmcnt(0)
	v_cmp_lt_u64_e64 s2, s[10:11], 2
	s_and_b32 vcc_lo, exec_lo, s2
	s_cbranch_vccnz .LBB0_8
; %bb.1:
	s_load_b64 s[2:3], s[0:1], 0x10
	v_mov_b32_e32 v4, 0
	v_mov_b32_e32 v5, 0
	s_add_u32 s12, s18, 8
	s_addc_u32 s13, s19, 0
	s_add_u32 s14, s16, 8
	s_addc_u32 s15, s17, 0
	v_dual_mov_b32 v93, v5 :: v_dual_mov_b32 v92, v4
	s_mov_b64 s[22:23], 1
	s_waitcnt lgkmcnt(0)
	s_add_u32 s20, s2, 8
	s_addc_u32 s21, s3, 0
.LBB0_2:                                ; =>This Inner Loop Header: Depth=1
	s_load_b64 s[24:25], s[20:21], 0x0
                                        ; implicit-def: $vgpr94_vgpr95
	s_mov_b32 s2, exec_lo
	s_waitcnt lgkmcnt(0)
	v_or_b32_e32 v2, s25, v7
	s_delay_alu instid0(VALU_DEP_1)
	v_cmpx_ne_u64_e32 0, v[1:2]
	s_xor_b32 s3, exec_lo, s2
	s_cbranch_execz .LBB0_4
; %bb.3:                                ;   in Loop: Header=BB0_2 Depth=1
	v_cvt_f32_u32_e32 v2, s24
	v_cvt_f32_u32_e32 v3, s25
	s_sub_u32 s2, 0, s24
	s_subb_u32 s26, 0, s25
	s_delay_alu instid0(VALU_DEP_1) | instskip(NEXT) | instid1(VALU_DEP_1)
	v_fmac_f32_e32 v2, 0x4f800000, v3
	v_rcp_f32_e32 v2, v2
	s_waitcnt_depctr 0xfff
	v_mul_f32_e32 v2, 0x5f7ffffc, v2
	s_delay_alu instid0(VALU_DEP_1) | instskip(NEXT) | instid1(VALU_DEP_1)
	v_mul_f32_e32 v3, 0x2f800000, v2
	v_trunc_f32_e32 v3, v3
	s_delay_alu instid0(VALU_DEP_1) | instskip(SKIP_1) | instid1(VALU_DEP_2)
	v_fmac_f32_e32 v2, 0xcf800000, v3
	v_cvt_u32_f32_e32 v3, v3
	v_cvt_u32_f32_e32 v2, v2
	s_delay_alu instid0(VALU_DEP_2) | instskip(NEXT) | instid1(VALU_DEP_2)
	v_mul_lo_u32 v8, s2, v3
	v_mul_hi_u32 v9, s2, v2
	v_mul_lo_u32 v10, s26, v2
	s_delay_alu instid0(VALU_DEP_2) | instskip(SKIP_1) | instid1(VALU_DEP_2)
	v_add_nc_u32_e32 v8, v9, v8
	v_mul_lo_u32 v9, s2, v2
	v_add_nc_u32_e32 v8, v8, v10
	s_delay_alu instid0(VALU_DEP_2) | instskip(NEXT) | instid1(VALU_DEP_2)
	v_mul_hi_u32 v10, v2, v9
	v_mul_lo_u32 v11, v2, v8
	v_mul_hi_u32 v12, v2, v8
	v_mul_hi_u32 v13, v3, v9
	v_mul_lo_u32 v9, v3, v9
	v_mul_hi_u32 v14, v3, v8
	v_mul_lo_u32 v8, v3, v8
	v_add_co_u32 v10, vcc_lo, v10, v11
	v_add_co_ci_u32_e32 v11, vcc_lo, 0, v12, vcc_lo
	s_delay_alu instid0(VALU_DEP_2) | instskip(NEXT) | instid1(VALU_DEP_2)
	v_add_co_u32 v9, vcc_lo, v10, v9
	v_add_co_ci_u32_e32 v9, vcc_lo, v11, v13, vcc_lo
	v_add_co_ci_u32_e32 v10, vcc_lo, 0, v14, vcc_lo
	s_delay_alu instid0(VALU_DEP_2) | instskip(NEXT) | instid1(VALU_DEP_2)
	v_add_co_u32 v8, vcc_lo, v9, v8
	v_add_co_ci_u32_e32 v9, vcc_lo, 0, v10, vcc_lo
	s_delay_alu instid0(VALU_DEP_2) | instskip(NEXT) | instid1(VALU_DEP_2)
	v_add_co_u32 v2, vcc_lo, v2, v8
	v_add_co_ci_u32_e32 v3, vcc_lo, v3, v9, vcc_lo
	s_delay_alu instid0(VALU_DEP_2) | instskip(SKIP_1) | instid1(VALU_DEP_3)
	v_mul_hi_u32 v8, s2, v2
	v_mul_lo_u32 v10, s26, v2
	v_mul_lo_u32 v9, s2, v3
	s_delay_alu instid0(VALU_DEP_1) | instskip(SKIP_1) | instid1(VALU_DEP_2)
	v_add_nc_u32_e32 v8, v8, v9
	v_mul_lo_u32 v9, s2, v2
	v_add_nc_u32_e32 v8, v8, v10
	s_delay_alu instid0(VALU_DEP_2) | instskip(NEXT) | instid1(VALU_DEP_2)
	v_mul_hi_u32 v10, v2, v9
	v_mul_lo_u32 v11, v2, v8
	v_mul_hi_u32 v12, v2, v8
	v_mul_hi_u32 v13, v3, v9
	v_mul_lo_u32 v9, v3, v9
	v_mul_hi_u32 v14, v3, v8
	v_mul_lo_u32 v8, v3, v8
	v_add_co_u32 v10, vcc_lo, v10, v11
	v_add_co_ci_u32_e32 v11, vcc_lo, 0, v12, vcc_lo
	s_delay_alu instid0(VALU_DEP_2) | instskip(NEXT) | instid1(VALU_DEP_2)
	v_add_co_u32 v9, vcc_lo, v10, v9
	v_add_co_ci_u32_e32 v9, vcc_lo, v11, v13, vcc_lo
	v_add_co_ci_u32_e32 v10, vcc_lo, 0, v14, vcc_lo
	s_delay_alu instid0(VALU_DEP_2) | instskip(NEXT) | instid1(VALU_DEP_2)
	v_add_co_u32 v8, vcc_lo, v9, v8
	v_add_co_ci_u32_e32 v9, vcc_lo, 0, v10, vcc_lo
	s_delay_alu instid0(VALU_DEP_2) | instskip(NEXT) | instid1(VALU_DEP_2)
	v_add_co_u32 v10, vcc_lo, v2, v8
	v_add_co_ci_u32_e32 v12, vcc_lo, v3, v9, vcc_lo
	s_delay_alu instid0(VALU_DEP_2) | instskip(SKIP_1) | instid1(VALU_DEP_3)
	v_mul_hi_u32 v13, v6, v10
	v_mad_u64_u32 v[8:9], null, v7, v10, 0
	v_mad_u64_u32 v[2:3], null, v6, v12, 0
	;; [unrolled: 1-line block ×3, first 2 shown]
	s_delay_alu instid0(VALU_DEP_2) | instskip(NEXT) | instid1(VALU_DEP_3)
	v_add_co_u32 v2, vcc_lo, v13, v2
	v_add_co_ci_u32_e32 v3, vcc_lo, 0, v3, vcc_lo
	s_delay_alu instid0(VALU_DEP_2) | instskip(NEXT) | instid1(VALU_DEP_2)
	v_add_co_u32 v2, vcc_lo, v2, v8
	v_add_co_ci_u32_e32 v2, vcc_lo, v3, v9, vcc_lo
	v_add_co_ci_u32_e32 v3, vcc_lo, 0, v11, vcc_lo
	s_delay_alu instid0(VALU_DEP_2) | instskip(NEXT) | instid1(VALU_DEP_2)
	v_add_co_u32 v8, vcc_lo, v2, v10
	v_add_co_ci_u32_e32 v9, vcc_lo, 0, v3, vcc_lo
	s_delay_alu instid0(VALU_DEP_2) | instskip(SKIP_1) | instid1(VALU_DEP_3)
	v_mul_lo_u32 v10, s25, v8
	v_mad_u64_u32 v[2:3], null, s24, v8, 0
	v_mul_lo_u32 v11, s24, v9
	s_delay_alu instid0(VALU_DEP_2) | instskip(NEXT) | instid1(VALU_DEP_2)
	v_sub_co_u32 v2, vcc_lo, v6, v2
	v_add3_u32 v3, v3, v11, v10
	s_delay_alu instid0(VALU_DEP_1) | instskip(NEXT) | instid1(VALU_DEP_1)
	v_sub_nc_u32_e32 v10, v7, v3
	v_subrev_co_ci_u32_e64 v10, s2, s25, v10, vcc_lo
	v_add_co_u32 v11, s2, v8, 2
	s_delay_alu instid0(VALU_DEP_1) | instskip(SKIP_3) | instid1(VALU_DEP_3)
	v_add_co_ci_u32_e64 v12, s2, 0, v9, s2
	v_sub_co_u32 v13, s2, v2, s24
	v_sub_co_ci_u32_e32 v3, vcc_lo, v7, v3, vcc_lo
	v_subrev_co_ci_u32_e64 v10, s2, 0, v10, s2
	v_cmp_le_u32_e32 vcc_lo, s24, v13
	s_delay_alu instid0(VALU_DEP_3) | instskip(SKIP_1) | instid1(VALU_DEP_4)
	v_cmp_eq_u32_e64 s2, s25, v3
	v_cndmask_b32_e64 v13, 0, -1, vcc_lo
	v_cmp_le_u32_e32 vcc_lo, s25, v10
	v_cndmask_b32_e64 v14, 0, -1, vcc_lo
	v_cmp_le_u32_e32 vcc_lo, s24, v2
	;; [unrolled: 2-line block ×3, first 2 shown]
	v_cndmask_b32_e64 v15, 0, -1, vcc_lo
	v_cmp_eq_u32_e32 vcc_lo, s25, v10
	s_delay_alu instid0(VALU_DEP_2) | instskip(SKIP_3) | instid1(VALU_DEP_3)
	v_cndmask_b32_e64 v2, v15, v2, s2
	v_cndmask_b32_e32 v10, v14, v13, vcc_lo
	v_add_co_u32 v13, vcc_lo, v8, 1
	v_add_co_ci_u32_e32 v14, vcc_lo, 0, v9, vcc_lo
	v_cmp_ne_u32_e32 vcc_lo, 0, v10
	s_delay_alu instid0(VALU_DEP_2) | instskip(SKIP_1) | instid1(VALU_DEP_2)
	v_dual_cndmask_b32 v3, v14, v12 :: v_dual_cndmask_b32 v10, v13, v11
	v_cmp_ne_u32_e32 vcc_lo, 0, v2
	v_dual_cndmask_b32 v95, v9, v3 :: v_dual_cndmask_b32 v94, v8, v10
.LBB0_4:                                ;   in Loop: Header=BB0_2 Depth=1
	s_and_not1_saveexec_b32 s2, s3
	s_cbranch_execz .LBB0_6
; %bb.5:                                ;   in Loop: Header=BB0_2 Depth=1
	v_cvt_f32_u32_e32 v2, s24
	s_sub_i32 s3, 0, s24
	v_mov_b32_e32 v95, v1
	s_delay_alu instid0(VALU_DEP_2) | instskip(SKIP_2) | instid1(VALU_DEP_1)
	v_rcp_iflag_f32_e32 v2, v2
	s_waitcnt_depctr 0xfff
	v_mul_f32_e32 v2, 0x4f7ffffe, v2
	v_cvt_u32_f32_e32 v2, v2
	s_delay_alu instid0(VALU_DEP_1) | instskip(NEXT) | instid1(VALU_DEP_1)
	v_mul_lo_u32 v3, s3, v2
	v_mul_hi_u32 v3, v2, v3
	s_delay_alu instid0(VALU_DEP_1) | instskip(NEXT) | instid1(VALU_DEP_1)
	v_add_nc_u32_e32 v2, v2, v3
	v_mul_hi_u32 v2, v6, v2
	s_delay_alu instid0(VALU_DEP_1) | instskip(SKIP_1) | instid1(VALU_DEP_2)
	v_mul_lo_u32 v3, v2, s24
	v_add_nc_u32_e32 v8, 1, v2
	v_sub_nc_u32_e32 v3, v6, v3
	s_delay_alu instid0(VALU_DEP_1) | instskip(SKIP_1) | instid1(VALU_DEP_2)
	v_subrev_nc_u32_e32 v9, s24, v3
	v_cmp_le_u32_e32 vcc_lo, s24, v3
	v_dual_cndmask_b32 v3, v3, v9 :: v_dual_cndmask_b32 v2, v2, v8
	s_delay_alu instid0(VALU_DEP_1) | instskip(NEXT) | instid1(VALU_DEP_2)
	v_cmp_le_u32_e32 vcc_lo, s24, v3
	v_add_nc_u32_e32 v8, 1, v2
	s_delay_alu instid0(VALU_DEP_1)
	v_cndmask_b32_e32 v94, v2, v8, vcc_lo
.LBB0_6:                                ;   in Loop: Header=BB0_2 Depth=1
	s_or_b32 exec_lo, exec_lo, s2
	s_delay_alu instid0(VALU_DEP_1) | instskip(NEXT) | instid1(VALU_DEP_2)
	v_mul_lo_u32 v8, v95, s24
	v_mul_lo_u32 v9, v94, s25
	s_load_b64 s[2:3], s[14:15], 0x0
	v_mad_u64_u32 v[2:3], null, v94, s24, 0
	s_load_b64 s[24:25], s[12:13], 0x0
	s_add_u32 s22, s22, 1
	s_addc_u32 s23, s23, 0
	s_add_u32 s12, s12, 8
	s_addc_u32 s13, s13, 0
	s_add_u32 s14, s14, 8
	s_delay_alu instid0(VALU_DEP_1) | instskip(SKIP_3) | instid1(VALU_DEP_2)
	v_add3_u32 v3, v3, v9, v8
	v_sub_co_u32 v8, vcc_lo, v6, v2
	s_addc_u32 s15, s15, 0
	s_add_u32 s20, s20, 8
	v_sub_co_ci_u32_e32 v6, vcc_lo, v7, v3, vcc_lo
	s_addc_u32 s21, s21, 0
	s_waitcnt lgkmcnt(0)
	s_delay_alu instid0(VALU_DEP_1)
	v_mul_lo_u32 v9, s2, v6
	v_mul_lo_u32 v10, s3, v8
	v_mad_u64_u32 v[2:3], null, s2, v8, v[4:5]
	v_mul_lo_u32 v11, s24, v6
	v_mul_lo_u32 v12, s25, v8
	v_mad_u64_u32 v[6:7], null, s24, v8, v[92:93]
	v_cmp_ge_u64_e64 s2, s[22:23], s[10:11]
	v_add3_u32 v5, v10, v3, v9
	v_mov_b32_e32 v4, v2
	s_delay_alu instid0(VALU_DEP_4)
	v_add3_u32 v93, v12, v7, v11
	v_mov_b32_e32 v92, v6
	s_and_b32 vcc_lo, exec_lo, s2
	s_cbranch_vccnz .LBB0_9
; %bb.7:                                ;   in Loop: Header=BB0_2 Depth=1
	v_dual_mov_b32 v6, v94 :: v_dual_mov_b32 v7, v95
	s_branch .LBB0_2
.LBB0_8:
	v_dual_mov_b32 v93, v5 :: v_dual_mov_b32 v92, v4
	v_dual_mov_b32 v95, v7 :: v_dual_mov_b32 v94, v6
.LBB0_9:
	s_load_b64 s[0:1], s[0:1], 0x28
	v_mul_hi_u32 v1, 0x25ed098, v0
	s_lshl_b64 s[10:11], s[10:11], 3
                                        ; implicit-def: $sgpr12
                                        ; implicit-def: $vgpr113
	s_delay_alu instid0(SALU_CYCLE_1) | instskip(SKIP_4) | instid1(VALU_DEP_1)
	s_add_u32 s2, s18, s10
	s_addc_u32 s3, s19, s11
	s_waitcnt lgkmcnt(0)
	v_cmp_gt_u64_e32 vcc_lo, s[0:1], v[94:95]
	v_cmp_le_u64_e64 s0, s[0:1], v[94:95]
	s_and_saveexec_b32 s1, s0
	s_delay_alu instid0(SALU_CYCLE_1)
	s_xor_b32 s0, exec_lo, s1
; %bb.10:
	v_mul_u32_u24_e32 v1, 0x6c, v1
	s_mov_b32 s12, 0
                                        ; implicit-def: $vgpr4_vgpr5
	s_delay_alu instid0(VALU_DEP_1)
	v_sub_nc_u32_e32 v113, v0, v1
                                        ; implicit-def: $vgpr1
                                        ; implicit-def: $vgpr0
; %bb.11:
	s_or_saveexec_b32 s1, s0
	s_load_b64 s[2:3], s[2:3], 0x0
	v_mov_b32_e32 v96, s12
                                        ; implicit-def: $vgpr36_vgpr37
                                        ; implicit-def: $vgpr24_vgpr25
                                        ; implicit-def: $vgpr2_vgpr3
                                        ; implicit-def: $vgpr40_vgpr41
                                        ; implicit-def: $vgpr28_vgpr29
                                        ; implicit-def: $vgpr48_vgpr49
                                        ; implicit-def: $vgpr32_vgpr33
                                        ; implicit-def: $vgpr64_vgpr65
                                        ; implicit-def: $vgpr44_vgpr45
                                        ; implicit-def: $vgpr60_vgpr61
                                        ; implicit-def: $vgpr72_vgpr73
                                        ; implicit-def: $vgpr56_vgpr57
                                        ; implicit-def: $vgpr90_vgpr91
                                        ; implicit-def: $vgpr86_vgpr87
                                        ; implicit-def: $vgpr78_vgpr79
                                        ; implicit-def: $vgpr68_vgpr69
                                        ; implicit-def: $vgpr52_vgpr53
                                        ; implicit-def: $vgpr20_vgpr21
	s_xor_b32 exec_lo, exec_lo, s1
	s_cbranch_execz .LBB0_15
; %bb.12:
	s_add_u32 s10, s16, s10
	s_addc_u32 s11, s17, s11
                                        ; implicit-def: $vgpr76_vgpr77
                                        ; implicit-def: $vgpr84_vgpr85
                                        ; implicit-def: $vgpr88_vgpr89
	s_load_b64 s[10:11], s[10:11], 0x0
	s_waitcnt lgkmcnt(0)
	v_mul_lo_u32 v6, s11, v94
	v_mul_lo_u32 v7, s10, v95
	v_mad_u64_u32 v[2:3], null, s10, v94, 0
	s_delay_alu instid0(VALU_DEP_1) | instskip(SKIP_1) | instid1(VALU_DEP_2)
	v_add3_u32 v3, v3, v7, v6
	v_mul_u32_u24_e32 v6, 0x6c, v1
	v_lshlrev_b64 v[1:2], 4, v[2:3]
	s_delay_alu instid0(VALU_DEP_2) | instskip(SKIP_1) | instid1(VALU_DEP_3)
	v_sub_nc_u32_e32 v113, v0, v6
	v_lshlrev_b64 v[3:4], 4, v[4:5]
	v_add_co_u32 v0, s0, s4, v1
	s_delay_alu instid0(VALU_DEP_1) | instskip(NEXT) | instid1(VALU_DEP_4)
	v_add_co_ci_u32_e64 v1, s0, s5, v2, s0
	v_lshlrev_b32_e32 v2, 4, v113
	s_delay_alu instid0(VALU_DEP_3) | instskip(NEXT) | instid1(VALU_DEP_1)
	v_add_co_u32 v0, s0, v0, v3
	v_add_co_ci_u32_e64 v1, s0, v1, v4, s0
	s_delay_alu instid0(VALU_DEP_3) | instskip(NEXT) | instid1(VALU_DEP_3)
	v_or_b32_e32 v3, 0x4800, v2
	v_add_co_u32 v8, s0, v0, v2
	s_delay_alu instid0(VALU_DEP_1) | instskip(NEXT) | instid1(VALU_DEP_3)
	v_add_co_ci_u32_e64 v9, s0, 0, v1, s0
	v_add_co_u32 v10, s0, v0, v3
	s_delay_alu instid0(VALU_DEP_1) | instskip(NEXT) | instid1(VALU_DEP_4)
	v_add_co_ci_u32_e64 v11, s0, 0, v1, s0
	v_add_co_u32 v4, s0, 0x2000, v8
	s_delay_alu instid0(VALU_DEP_1) | instskip(SKIP_1) | instid1(VALU_DEP_1)
	v_add_co_ci_u32_e64 v5, s0, 0, v9, s0
	v_add_co_u32 v6, s0, 0x4000, v8
	v_add_co_ci_u32_e64 v7, s0, 0, v9, s0
	v_add_co_u32 v12, s0, 0x3000, v8
	s_delay_alu instid0(VALU_DEP_1) | instskip(SKIP_1) | instid1(VALU_DEP_1)
	v_add_co_ci_u32_e64 v13, s0, 0, v9, s0
	v_add_co_u32 v14, s0, 0x5000, v8
	v_add_co_ci_u32_e64 v15, s0, 0, v9, s0
	v_add_co_u32 v16, s0, 0x1000, v8
	s_delay_alu instid0(VALU_DEP_1)
	v_add_co_ci_u32_e64 v17, s0, 0, v9, s0
	s_clause 0x9
	global_load_b128 v[18:21], v[8:9], off
	global_load_b128 v[0:3], v[8:9], off offset:1728
	global_load_b128 v[22:25], v[10:11], off
	global_load_b128 v[38:41], v[4:5], off offset:2752
	global_load_b128 v[34:37], v[4:5], off offset:1024
	;; [unrolled: 1-line block ×7, first 2 shown]
	v_add_co_u32 v8, s0, 0x6000, v8
	s_delay_alu instid0(VALU_DEP_1)
	v_add_co_ci_u32_e64 v9, s0, 0, v9, s0
	s_clause 0x4
	global_load_b128 v[66:69], v[16:17], off offset:1088
	global_load_b128 v[58:61], v[16:17], off offset:2816
	;; [unrolled: 1-line block ×5, first 2 shown]
	s_mov_b32 s4, exec_lo
	v_cmpx_gt_u32_e32 36, v113
; %bb.13:
	s_clause 0x2
	global_load_b128 v[76:79], v[4:5], off offset:448
	global_load_b128 v[84:87], v[6:7], off offset:1472
	;; [unrolled: 1-line block ×3, first 2 shown]
; %bb.14:
	s_or_b32 exec_lo, exec_lo, s4
	v_mov_b32_e32 v96, v113
.LBB0_15:
	s_or_b32 exec_lo, exec_lo, s1
	s_waitcnt vmcnt(8)
	v_add_f64 v[4:5], v[38:39], v[26:27]
	s_waitcnt vmcnt(6)
	v_add_f64 v[6:7], v[46:47], v[30:31]
	;; [unrolled: 2-line block ×3, first 2 shown]
	v_add_f64 v[10:11], v[34:35], v[22:23]
	s_waitcnt vmcnt(0)
	v_add_f64 v[12:13], v[70:71], v[54:55]
	v_add_f64 v[14:15], v[88:89], v[84:85]
	;; [unrolled: 1-line block ×3, first 2 shown]
	v_add_f64 v[74:75], v[40:41], -v[28:29]
	v_add_f64 v[80:81], v[46:47], v[50:51]
	v_add_f64 v[97:98], v[62:63], v[66:67]
	;; [unrolled: 1-line block ×3, first 2 shown]
	v_add_f64 v[101:102], v[64:65], -v[44:45]
	v_add_f64 v[105:106], v[34:35], v[18:19]
	v_add_f64 v[107:108], v[84:85], v[76:77]
	v_add_f64 v[82:83], v[48:49], -v[32:33]
	v_add_f64 v[103:104], v[36:37], -v[24:25]
	s_mov_b32 s0, 0xe8584caa
	s_mov_b32 s1, 0x3febb67a
	;; [unrolled: 1-line block ×4, first 2 shown]
	v_fma_f64 v[0:1], v[4:5], -0.5, v[0:1]
	v_fma_f64 v[4:5], v[6:7], -0.5, v[50:51]
	;; [unrolled: 1-line block ×4, first 2 shown]
	v_add_f64 v[10:11], v[72:73], -v[56:57]
	v_fma_f64 v[12:13], v[12:13], -0.5, v[58:59]
	v_add_f64 v[18:19], v[86:87], -v[90:91]
	v_fma_f64 v[14:15], v[14:15], -0.5, v[76:77]
	v_add_f64 v[16:17], v[16:17], v[26:27]
	v_add_f64 v[76:77], v[30:31], v[80:81]
	;; [unrolled: 1-line block ×6, first 2 shown]
	v_fma_f64 v[107:108], v[74:75], s[0:1], v[0:1]
	v_fma_f64 v[111:112], v[82:83], s[0:1], v[4:5]
	;; [unrolled: 1-line block ×12, first 2 shown]
	v_mad_u32_u24 v0, v113, 24, 0
	v_cmp_gt_u32_e64 s1, 36, v113
	s_delay_alu instid0(VALU_DEP_2)
	v_add_nc_u32_e32 v106, 0xa20, v0
	v_add_nc_u32_e32 v105, 0x1440, v0
	;; [unrolled: 1-line block ×5, first 2 shown]
	ds_store_2addr_b64 v106, v[16:17], v[107:108] offset1:1
	ds_store_2addr_b64 v105, v[76:77], v[111:112] offset1:1
	;; [unrolled: 1-line block ×3, first 2 shown]
	ds_store_b64 v0, v[8:9] offset:16
	ds_store_2addr_b64 v104, v[80:81], v[114:115] offset1:1
	ds_store_2addr_b64 v103, v[50:51], v[97:98] offset1:1
	ds_store_b64 v0, v[74:75] offset:2608
	ds_store_b64 v0, v[4:5] offset:5200
	;; [unrolled: 1-line block ×4, first 2 shown]
	s_and_saveexec_b32 s0, s1
	s_cbranch_execz .LBB0_17
; %bb.16:
	ds_store_2addr_b64 v1, v[99:100], v[66:67] offset1:1
	ds_store_b64 v0, v[101:102] offset:12976
.LBB0_17:
	s_or_b32 exec_lo, exec_lo, s0
	v_lshlrev_b32_e32 v4, 4, v113
	s_waitcnt lgkmcnt(0)
	s_barrier
	buffer_gl0_inv
	v_cmp_gt_u32_e64 s0, 0x48, v113
	v_sub_nc_u32_e32 v114, v0, v4
	s_delay_alu instid0(VALU_DEP_1)
	v_add_nc_u32_e32 v8, 0x800, v114
	v_add_nc_u32_e32 v9, 0x1000, v114
	;; [unrolled: 1-line block ×5, first 2 shown]
	ds_load_2addr_b64 v[4:7], v114 offset1:108
	ds_load_2addr_b64 v[16:19], v8 offset0:32 offset1:140
	ds_load_2addr_b64 v[8:11], v9 offset0:64 offset1:172
	ds_load_2addr_b64 v[80:83], v12 offset0:96 offset1:204
	ds_load_2addr_b64 v[12:15], v13 offset0:128 offset1:236
	ds_load_2addr_b64 v[74:77], v74 offset0:32 offset1:140
	s_and_saveexec_b32 s4, s0
	s_cbranch_execz .LBB0_19
; %bb.18:
	ds_load_b64 v[50:51], v114 offset:1728
	ds_load_b64 v[97:98], v114 offset:4032
	;; [unrolled: 1-line block ×6, first 2 shown]
.LBB0_19:
	s_or_b32 exec_lo, exec_lo, s4
	v_add_f64 v[107:108], v[36:37], v[24:25]
	v_add_f64 v[109:110], v[40:41], v[28:29]
	;; [unrolled: 1-line block ×7, first 2 shown]
	v_add_f64 v[22:23], v[34:35], -v[22:23]
	v_add_f64 v[34:35], v[2:3], v[40:41]
	v_add_f64 v[26:27], v[38:39], -v[26:27]
	v_add_f64 v[38:39], v[48:49], v[52:53]
	v_add_f64 v[30:31], v[46:47], -v[30:31]
	v_add_f64 v[40:41], v[64:65], v[68:69]
	v_add_f64 v[46:47], v[60:61], v[72:73]
	v_add_f64 v[48:49], v[86:87], v[78:79]
	v_add_f64 v[42:43], v[62:63], -v[42:43]
	v_add_f64 v[54:55], v[70:71], -v[54:55]
	v_add_f64 v[64:65], v[84:85], -v[88:89]
	s_mov_b32 s4, 0xe8584caa
	s_mov_b32 s5, 0xbfebb67a
	;; [unrolled: 1-line block ×4, first 2 shown]
	s_waitcnt lgkmcnt(0)
	s_barrier
	buffer_gl0_inv
	v_fma_f64 v[20:21], v[107:108], -0.5, v[20:21]
	v_fma_f64 v[2:3], v[109:110], -0.5, v[2:3]
	;; [unrolled: 1-line block ×6, first 2 shown]
	v_add_f64 v[24:25], v[24:25], v[36:37]
	v_add_f64 v[28:29], v[34:35], v[28:29]
	;; [unrolled: 1-line block ×6, first 2 shown]
	v_fma_f64 v[36:37], v[22:23], s[4:5], v[20:21]
	v_fma_f64 v[20:21], v[22:23], s[10:11], v[20:21]
	;; [unrolled: 1-line block ×12, first 2 shown]
	ds_store_2addr_b64 v0, v[24:25], v[36:37] offset1:1
	ds_store_b64 v0, v[20:21] offset:16
	ds_store_2addr_b64 v106, v[28:29], v[22:23] offset1:1
	ds_store_2addr_b64 v105, v[32:33], v[26:27] offset1:1
	;; [unrolled: 1-line block ×4, first 2 shown]
	ds_store_b64 v0, v[2:3] offset:2608
	ds_store_b64 v0, v[30:31] offset:5200
	;; [unrolled: 1-line block ×4, first 2 shown]
	s_and_saveexec_b32 s4, s1
	s_cbranch_execz .LBB0_21
; %bb.20:
	ds_store_2addr_b64 v1, v[48:49], v[44:45] offset1:1
	ds_store_b64 v0, v[52:53] offset:12976
.LBB0_21:
	s_or_b32 exec_lo, exec_lo, s4
	v_add_nc_u32_e32 v20, 0x800, v114
	v_add_nc_u32_e32 v21, 0x1000, v114
	;; [unrolled: 1-line block ×5, first 2 shown]
	s_waitcnt lgkmcnt(0)
	s_barrier
	buffer_gl0_inv
	ds_load_2addr_b64 v[0:3], v114 offset1:108
	ds_load_2addr_b64 v[28:31], v20 offset0:32 offset1:140
	ds_load_2addr_b64 v[20:23], v21 offset0:64 offset1:172
	;; [unrolled: 1-line block ×5, first 2 shown]
	s_and_saveexec_b32 s1, s0
	s_cbranch_execz .LBB0_23
; %bb.22:
	ds_load_b64 v[40:41], v114 offset:1728
	ds_load_b64 v[46:47], v114 offset:4032
	;; [unrolled: 1-line block ×6, first 2 shown]
.LBB0_23:
	s_or_b32 exec_lo, exec_lo, s1
	v_and_b32_e32 v119, 0xff, v113
	v_add_nc_u16 v117, v113, 0x6c
	v_add_nc_u32_e32 v116, 0xd8, v113
	s_mov_b32 s4, 0xe8584caa
	s_mov_b32 s5, 0x3febb67a
	v_mul_lo_u16 v54, 0xab, v119
	v_and_b32_e32 v120, 0xff, v117
	v_and_b32_e32 v118, 0xffff, v116
	s_mov_b32 s11, 0xbfebb67a
	s_mov_b32 s10, s4
	v_lshrrev_b16 v115, 9, v54
	v_mul_lo_u16 v54, 0xab, v120
	v_mul_u32_u24_e32 v56, 0xaaab, v118
	s_delay_alu instid0(VALU_DEP_3) | instskip(NEXT) | instid1(VALU_DEP_3)
	v_mul_lo_u16 v55, v115, 3
	v_lshrrev_b16 v165, 9, v54
	s_delay_alu instid0(VALU_DEP_3) | instskip(NEXT) | instid1(VALU_DEP_3)
	v_lshrrev_b32_e32 v166, 17, v56
	v_sub_nc_u16 v54, v113, v55
	s_delay_alu instid0(VALU_DEP_3) | instskip(NEXT) | instid1(VALU_DEP_2)
	v_mul_lo_u16 v55, v165, 3
	v_and_b32_e32 v167, 0xff, v54
	s_delay_alu instid0(VALU_DEP_2) | instskip(SKIP_1) | instid1(VALU_DEP_3)
	v_sub_nc_u16 v55, v117, v55
	v_mul_lo_u16 v54, v166, 3
	v_mul_u32_u24_e32 v56, 5, v167
	s_delay_alu instid0(VALU_DEP_3) | instskip(NEXT) | instid1(VALU_DEP_3)
	v_and_b32_e32 v168, 0xff, v55
	v_sub_nc_u16 v54, v116, v54
	s_delay_alu instid0(VALU_DEP_3) | instskip(NEXT) | instid1(VALU_DEP_3)
	v_lshlrev_b32_e32 v64, 4, v56
	v_mul_u32_u24_e32 v60, 5, v168
	s_delay_alu instid0(VALU_DEP_3) | instskip(SKIP_4) | instid1(VALU_DEP_1)
	v_and_b32_e32 v169, 0xffff, v54
	global_load_b128 v[54:57], v64, s[8:9] offset:32
	v_lshlrev_b32_e32 v72, 4, v60
	global_load_b128 v[60:63], v64, s[8:9] offset:64
	v_mul_u32_u24_e32 v65, 5, v169
	v_lshlrev_b32_e32 v65, 4, v65
	s_clause 0xc
	global_load_b128 v[68:71], v72, s[8:9] offset:32
	global_load_b128 v[84:87], v72, s[8:9] offset:64
	;; [unrolled: 1-line block ×4, first 2 shown]
	global_load_b128 v[107:110], v64, s[8:9]
	global_load_b128 v[121:124], v72, s[8:9]
	;; [unrolled: 1-line block ×3, first 2 shown]
	global_load_b128 v[129:132], v64, s[8:9] offset:16
	global_load_b128 v[133:136], v64, s[8:9] offset:48
	global_load_b128 v[137:140], v72, s[8:9] offset:16
	global_load_b128 v[141:144], v72, s[8:9] offset:48
	global_load_b128 v[145:148], v65, s[8:9] offset:16
	global_load_b128 v[149:152], v65, s[8:9] offset:48
	s_waitcnt vmcnt(0) lgkmcnt(0)
	s_barrier
	buffer_gl0_inv
	v_mul_f64 v[111:112], v[34:35], v[70:71]
	v_mul_f64 v[64:65], v[32:33], v[56:57]
	;; [unrolled: 1-line block ×13, first 2 shown]
	v_fma_f64 v[161:162], v[80:81], v[54:55], -v[64:65]
	v_fma_f64 v[62:63], v[32:33], v[54:55], v[56:57]
	v_mul_f64 v[54:55], v[16:17], v[109:110]
	v_mul_f64 v[56:57], v[30:31], v[123:124]
	v_fma_f64 v[163:164], v[74:75], v[60:61], -v[72:73]
	v_fma_f64 v[32:33], v[36:37], v[60:61], v[78:79]
	v_mul_f64 v[60:61], v[18:19], v[123:124]
	v_mul_f64 v[72:73], v[46:47], v[127:128]
	v_fma_f64 v[109:110], v[82:83], v[68:69], -v[111:112]
	v_mul_f64 v[74:75], v[97:98], v[127:128]
	v_fma_f64 v[64:65], v[34:35], v[68:69], v[70:71]
	v_fma_f64 v[34:35], v[38:39], v[84:85], v[153:154]
	v_fma_f64 v[123:124], v[76:77], v[84:85], -v[86:87]
	v_fma_f64 v[111:112], v[99:100], v[88:89], -v[155:156]
	v_fma_f64 v[38:39], v[48:49], v[88:89], v[90:91]
	v_fma_f64 v[36:37], v[52:53], v[103:104], v[157:158]
	v_fma_f64 v[48:49], v[101:102], v[103:104], -v[105:106]
	v_mul_f64 v[52:53], v[20:21], v[131:132]
	v_mul_f64 v[70:71], v[24:25], v[135:136]
	;; [unrolled: 1-line block ×6, first 2 shown]
	v_fma_f64 v[16:17], v[16:17], v[107:108], -v[159:160]
	v_mul_f64 v[99:100], v[12:13], v[135:136]
	v_mul_f64 v[105:106], v[10:11], v[139:140]
	v_fma_f64 v[28:29], v[28:29], v[107:108], v[54:55]
	v_fma_f64 v[18:19], v[18:19], v[121:122], -v[56:57]
	v_add_f64 v[84:85], v[161:162], v[163:164]
	v_add_f64 v[54:55], v[62:63], v[32:33]
	v_fma_f64 v[68:69], v[30:31], v[121:122], v[60:61]
	v_fma_f64 v[103:104], v[97:98], v[125:126], -v[72:73]
	v_mul_f64 v[97:98], v[8:9], v[131:132]
	v_fma_f64 v[30:31], v[46:47], v[125:126], v[74:75]
	v_mul_f64 v[121:122], v[58:59], v[147:148]
	v_add_f64 v[56:57], v[64:65], v[34:35]
	v_add_f64 v[60:61], v[109:110], v[123:124]
	v_mul_f64 v[125:126], v[66:67], v[151:152]
	v_mul_f64 v[107:108], v[14:15], v[143:144]
	v_add_f64 v[74:75], v[38:39], v[36:37]
	v_add_f64 v[88:89], v[111:112], v[48:49]
	v_fma_f64 v[86:87], v[8:9], v[129:130], -v[52:53]
	v_fma_f64 v[90:91], v[12:13], v[133:134], -v[70:71]
	;; [unrolled: 1-line block ×6, first 2 shown]
	v_add_f64 v[10:11], v[161:162], -v[163:164]
	v_add_f64 v[127:128], v[111:112], -v[48:49]
	;; [unrolled: 1-line block ×4, first 2 shown]
	v_fma_f64 v[76:77], v[24:25], v[133:134], v[99:100]
	v_fma_f64 v[14:15], v[84:85], -0.5, v[16:17]
	v_fma_f64 v[12:13], v[54:55], -0.5, v[28:29]
	v_add_f64 v[54:55], v[109:110], -v[123:124]
	v_add_f64 v[16:17], v[16:17], v[161:162]
	v_fma_f64 v[101:102], v[20:21], v[129:130], v[97:98]
	v_fma_f64 v[97:98], v[22:23], v[137:138], v[105:106]
	;; [unrolled: 1-line block ×3, first 2 shown]
	v_fma_f64 v[56:57], v[56:57], -0.5, v[68:69]
	v_fma_f64 v[58:59], v[60:61], -0.5, v[18:19]
	v_add_f64 v[60:61], v[38:39], -v[36:37]
	v_fma_f64 v[42:43], v[44:45], v[149:150], v[125:126]
	v_fma_f64 v[131:132], v[74:75], -0.5, v[30:31]
	v_fma_f64 v[135:136], v[88:89], -0.5, v[103:104]
	v_fma_f64 v[74:75], v[26:27], v[141:142], v[107:108]
	v_add_f64 v[20:21], v[86:87], v[90:91]
	v_add_f64 v[26:27], v[4:5], v[86:87]
	;; [unrolled: 1-line block ×8, first 2 shown]
	v_fma_f64 v[88:89], v[8:9], s[10:11], v[14:15]
	v_fma_f64 v[82:83], v[10:11], s[10:11], v[12:13]
	;; [unrolled: 1-line block ×4, first 2 shown]
	v_add_f64 v[121:122], v[101:102], -v[76:77]
	v_add_f64 v[16:17], v[16:17], v[163:164]
	v_fma_f64 v[78:79], v[54:55], s[10:11], v[56:57]
	v_fma_f64 v[84:85], v[52:53], s[10:11], v[58:59]
	v_fma_f64 v[107:108], v[52:53], s[4:5], v[58:59]
	v_add_f64 v[137:138], v[99:100], -v[42:43]
	v_fma_f64 v[44:45], v[127:128], s[10:11], v[131:132]
	v_fma_f64 v[80:81], v[60:61], s[10:11], v[135:136]
	v_fma_f64 v[103:104], v[127:128], s[4:5], v[131:132]
	v_fma_f64 v[4:5], v[20:21], -0.5, v[4:5]
	v_add_f64 v[129:130], v[97:98], -v[74:75]
	v_fma_f64 v[6:7], v[22:23], -0.5, v[6:7]
	v_fma_f64 v[109:110], v[54:55], s[4:5], v[56:57]
	v_fma_f64 v[20:21], v[24:25], -0.5, v[50:51]
	v_fma_f64 v[50:51], v[60:61], s[4:5], v[135:136]
	v_add_f64 v[26:27], v[26:27], v[90:91]
	v_add_f64 v[52:53], v[125:126], v[72:73]
	v_add_f64 v[18:19], v[18:19], v[123:124]
	v_add_f64 v[54:55], v[133:134], v[66:67]
	v_add_f64 v[56:57], v[139:140], v[48:49]
	v_mul_f64 v[10:11], v[88:89], -0.5
	v_mul_f64 v[8:9], v[82:83], s[4:5]
	v_mul_f64 v[12:13], v[78:79], s[4:5]
	v_mul_f64 v[14:15], v[84:85], -0.5
	v_mul_f64 v[22:23], v[44:45], s[4:5]
	v_mul_f64 v[24:25], v[80:81], -0.5
	v_fma_f64 v[60:61], v[121:122], s[4:5], v[4:5]
	v_fma_f64 v[4:5], v[121:122], s[10:11], v[4:5]
	v_fma_f64 v[121:122], v[129:130], s[4:5], v[6:7]
	v_fma_f64 v[6:7], v[129:130], s[10:11], v[6:7]
	v_fma_f64 v[123:124], v[137:138], s[4:5], v[20:21]
	v_fma_f64 v[20:21], v[137:138], s[10:11], v[20:21]
	v_add_f64 v[125:126], v[26:27], v[16:17]
	v_add_f64 v[16:17], v[26:27], -v[16:17]
	v_add_f64 v[26:27], v[52:53], v[18:19]
	v_add_f64 v[18:19], v[52:53], -v[18:19]
	;; [unrolled: 2-line block ×3, first 2 shown]
	v_fma_f64 v[10:11], v[111:112], s[4:5], v[10:11]
	v_fma_f64 v[8:9], v[105:106], 0.5, v[8:9]
	v_fma_f64 v[12:13], v[107:108], 0.5, v[12:13]
	v_fma_f64 v[14:15], v[109:110], s[4:5], v[14:15]
	v_fma_f64 v[22:23], v[50:51], 0.5, v[22:23]
	v_fma_f64 v[24:25], v[103:104], s[4:5], v[24:25]
	v_add_f64 v[129:130], v[4:5], v[10:11]
	v_add_f64 v[127:128], v[60:61], v[8:9]
	v_add_f64 v[8:9], v[60:61], -v[8:9]
	v_add_f64 v[4:5], v[4:5], -v[10:11]
	v_add_f64 v[10:11], v[121:122], v[12:13]
	v_add_f64 v[131:132], v[6:7], v[14:15]
	v_add_f64 v[12:13], v[121:122], -v[12:13]
	v_add_f64 v[6:7], v[6:7], -v[14:15]
	;; [unrolled: 4-line block ×3, first 2 shown]
	v_and_b32_e32 v14, 0xffff, v115
	v_and_b32_e32 v15, 0xffff, v165
	v_lshlrev_b32_e32 v20, 3, v167
	v_lshlrev_b32_e32 v21, 3, v168
	v_mul_lo_u16 v121, v166, 18
	v_mul_u32_u24_e32 v14, 0x90, v14
	v_mul_u32_u24_e32 v15, 0x90, v15
	v_lshlrev_b32_e32 v122, 3, v169
	s_delay_alu instid0(VALU_DEP_3) | instskip(NEXT) | instid1(VALU_DEP_3)
	v_add3_u32 v124, 0, v14, v20
	v_add3_u32 v123, 0, v15, v21
	ds_store_2addr_b64 v124, v[125:126], v[127:128] offset1:3
	ds_store_2addr_b64 v124, v[129:130], v[16:17] offset0:6 offset1:9
	ds_store_2addr_b64 v124, v[8:9], v[4:5] offset0:12 offset1:15
	ds_store_2addr_b64 v123, v[26:27], v[10:11] offset1:3
	ds_store_2addr_b64 v123, v[131:132], v[18:19] offset0:6 offset1:9
	ds_store_2addr_b64 v123, v[12:13], v[6:7] offset0:12 offset1:15
	s_and_saveexec_b32 s1, s0
	s_cbranch_execz .LBB0_25
; %bb.24:
	v_and_b32_e32 v4, 0xffff, v121
	s_delay_alu instid0(VALU_DEP_1) | instskip(NEXT) | instid1(VALU_DEP_1)
	v_lshlrev_b32_e32 v4, 3, v4
	v_add3_u32 v4, 0, v122, v4
	ds_store_2addr_b64 v4, v[48:49], v[56:57] offset1:3
	ds_store_2addr_b64 v4, v[52:53], v[58:59] offset0:6 offset1:9
	ds_store_2addr_b64 v4, v[54:55], v[60:61] offset0:12 offset1:15
.LBB0_25:
	s_or_b32 exec_lo, exec_lo, s1
	v_add_nc_u32_e32 v8, 0x800, v114
	v_add_nc_u32_e32 v9, 0x1000, v114
	;; [unrolled: 1-line block ×5, first 2 shown]
	s_waitcnt lgkmcnt(0)
	s_barrier
	buffer_gl0_inv
	ds_load_2addr_b64 v[4:7], v114 offset1:108
	ds_load_2addr_b64 v[16:19], v8 offset0:32 offset1:140
	ds_load_2addr_b64 v[8:11], v9 offset0:64 offset1:172
	;; [unrolled: 1-line block ×5, first 2 shown]
	v_lshl_add_u32 v115, v113, 3, 0
	s_and_saveexec_b32 s1, s0
	s_cbranch_execz .LBB0_27
; %bb.26:
	ds_load_b64 v[56:57], v114 offset:4032
	ds_load_b64 v[52:53], v114 offset:6336
	;; [unrolled: 1-line block ×6, first 2 shown]
.LBB0_27:
	s_or_b32 exec_lo, exec_lo, s1
	v_add_f64 v[125:126], v[101:102], v[76:77]
	v_add_f64 v[127:128], v[97:98], v[74:75]
	;; [unrolled: 1-line block ×3, first 2 shown]
	s_mov_b32 s4, 0xe8584caa
	s_mov_b32 s5, 0xbfebb67a
	v_add_f64 v[101:102], v[0:1], v[101:102]
	v_add_f64 v[86:87], v[86:87], -v[90:91]
	v_add_f64 v[28:29], v[28:29], v[62:63]
	v_mul_f64 v[62:63], v[111:112], -0.5
	v_add_f64 v[90:91], v[2:3], v[97:98]
	v_add_f64 v[64:65], v[68:69], v[64:65]
	;; [unrolled: 1-line block ×4, first 2 shown]
	v_mul_f64 v[38:39], v[105:106], s[4:5]
	v_add_f64 v[70:71], v[70:71], -v[72:73]
	v_mul_f64 v[72:73], v[109:110], -0.5
	v_mul_f64 v[97:98], v[107:108], s[4:5]
	v_add_f64 v[46:47], v[46:47], -v[66:67]
	v_mul_f64 v[66:67], v[103:104], -0.5
	v_mul_f64 v[50:51], v[50:51], s[4:5]
	s_mov_b32 s11, 0x3febb67a
	s_mov_b32 s10, s4
	s_waitcnt lgkmcnt(0)
	s_barrier
	buffer_gl0_inv
	v_fma_f64 v[0:1], v[125:126], -0.5, v[0:1]
	v_fma_f64 v[2:3], v[127:128], -0.5, v[2:3]
	;; [unrolled: 1-line block ×3, first 2 shown]
	v_add_f64 v[76:77], v[101:102], v[76:77]
	v_add_f64 v[28:29], v[28:29], v[32:33]
	v_fma_f64 v[32:33], v[88:89], s[4:5], v[62:63]
	v_add_f64 v[62:63], v[90:91], v[74:75]
	v_add_f64 v[34:35], v[64:65], v[34:35]
	;; [unrolled: 1-line block ×4, first 2 shown]
	v_fma_f64 v[36:37], v[82:83], 0.5, v[38:39]
	v_fma_f64 v[64:65], v[84:85], s[4:5], v[72:73]
	v_fma_f64 v[72:73], v[78:79], 0.5, v[97:98]
	v_fma_f64 v[44:45], v[44:45], 0.5, v[50:51]
	v_fma_f64 v[38:39], v[86:87], s[4:5], v[0:1]
	v_fma_f64 v[74:75], v[70:71], s[4:5], v[2:3]
	;; [unrolled: 1-line block ×7, first 2 shown]
	v_add_f64 v[46:47], v[76:77], v[28:29]
	v_add_f64 v[28:29], v[76:77], -v[28:29]
	v_add_f64 v[76:77], v[62:63], v[34:35]
	v_add_f64 v[34:35], v[62:63], -v[34:35]
	;; [unrolled: 2-line block ×5, first 2 shown]
	v_add_f64 v[66:67], v[78:79], v[44:45]
	v_add_f64 v[62:63], v[40:41], v[70:71]
	v_add_f64 v[64:65], v[78:79], -v[44:45]
	v_add_f64 v[70:71], v[40:41], -v[70:71]
	v_add_f64 v[42:43], v[0:1], v[32:33]
	v_add_f64 v[0:1], v[0:1], -v[32:33]
	v_add_f64 v[32:33], v[74:75], v[72:73]
	v_add_f64 v[72:73], v[74:75], -v[72:73]
	ds_store_2addr_b64 v124, v[46:47], v[30:31] offset1:3
	ds_store_2addr_b64 v124, v[42:43], v[28:29] offset0:6 offset1:9
	ds_store_2addr_b64 v124, v[36:37], v[0:1] offset0:12 offset1:15
	ds_store_2addr_b64 v123, v[76:77], v[32:33] offset1:3
	ds_store_2addr_b64 v123, v[38:39], v[34:35] offset0:6 offset1:9
	ds_store_2addr_b64 v123, v[72:73], v[2:3] offset0:12 offset1:15
	s_and_saveexec_b32 s1, s0
	s_cbranch_execz .LBB0_29
; %bb.28:
	v_and_b32_e32 v0, 0xffff, v121
	s_delay_alu instid0(VALU_DEP_1) | instskip(NEXT) | instid1(VALU_DEP_1)
	v_lshlrev_b32_e32 v0, 3, v0
	v_add3_u32 v0, 0, v122, v0
	ds_store_2addr_b64 v0, v[50:51], v[66:67] offset1:3
	ds_store_2addr_b64 v0, v[62:63], v[68:69] offset0:6 offset1:9
	ds_store_2addr_b64 v0, v[64:65], v[70:71] offset0:12 offset1:15
.LBB0_29:
	s_or_b32 exec_lo, exec_lo, s1
	v_add_nc_u32_e32 v28, 0x800, v114
	v_add_nc_u32_e32 v29, 0x1000, v114
	;; [unrolled: 1-line block ×5, first 2 shown]
	s_waitcnt lgkmcnt(0)
	s_barrier
	buffer_gl0_inv
	ds_load_2addr_b64 v[0:3], v114 offset1:108
	ds_load_2addr_b64 v[36:39], v28 offset0:32 offset1:140
	ds_load_2addr_b64 v[28:31], v29 offset0:64 offset1:172
	;; [unrolled: 1-line block ×5, first 2 shown]
	s_and_saveexec_b32 s1, s0
	s_cbranch_execz .LBB0_31
; %bb.30:
	ds_load_b64 v[66:67], v114 offset:4032
	ds_load_b64 v[62:63], v114 offset:6336
	;; [unrolled: 1-line block ×6, first 2 shown]
.LBB0_31:
	s_or_b32 exec_lo, exec_lo, s1
	v_mul_lo_u16 v72, v119, 57
	v_mul_lo_u16 v73, v120, 57
	v_mul_u32_u24_e32 v121, 0xe38f, v118
	s_mov_b32 s4, 0xe8584caa
	s_mov_b32 s5, 0x3febb67a
	v_lshrrev_b16 v153, 10, v72
	v_lshrrev_b16 v154, 10, v73
	v_lshrrev_b32_e32 v157, 20, v121
	s_mov_b32 s11, 0xbfebb67a
	s_mov_b32 s10, s4
	v_mul_lo_u16 v72, v153, 18
	v_mul_lo_u16 v73, v154, 18
	;; [unrolled: 1-line block ×3, first 2 shown]
	s_delay_alu instid0(VALU_DEP_3) | instskip(NEXT) | instid1(VALU_DEP_3)
	v_sub_nc_u16 v72, v113, v72
	v_sub_nc_u16 v73, v117, v73
	s_delay_alu instid0(VALU_DEP_3) | instskip(NEXT) | instid1(VALU_DEP_3)
	v_sub_nc_u16 v116, v116, v121
	v_and_b32_e32 v155, 0xff, v72
	s_delay_alu instid0(VALU_DEP_3) | instskip(NEXT) | instid1(VALU_DEP_3)
	v_and_b32_e32 v156, 0xff, v73
	v_and_b32_e32 v158, 0xffff, v116
	s_delay_alu instid0(VALU_DEP_3) | instskip(NEXT) | instid1(VALU_DEP_3)
	v_mul_u32_u24_e32 v72, 5, v155
	v_mul_u32_u24_e32 v73, 5, v156
	s_delay_alu instid0(VALU_DEP_3) | instskip(NEXT) | instid1(VALU_DEP_3)
	v_mul_u32_u24_e32 v116, 5, v158
	v_lshlrev_b32_e32 v109, 4, v72
	s_delay_alu instid0(VALU_DEP_3) | instskip(NEXT) | instid1(VALU_DEP_3)
	v_lshlrev_b32_e32 v117, 4, v73
	v_lshlrev_b32_e32 v116, 4, v116
	s_clause 0xe
	global_load_b128 v[72:75], v109, s[8:9] offset:272
	global_load_b128 v[76:79], v109, s[8:9] offset:304
	;; [unrolled: 1-line block ×15, first 2 shown]
	s_waitcnt vmcnt(0) lgkmcnt(0)
	s_barrier
	buffer_gl0_inv
	v_mul_f64 v[141:142], v[40:41], v[74:75]
	v_mul_f64 v[74:75], v[24:25], v[74:75]
	;; [unrolled: 1-line block ×12, first 2 shown]
	v_fma_f64 v[141:142], v[24:25], v[72:73], -v[141:142]
	v_fma_f64 v[40:41], v[40:41], v[72:73], v[74:75]
	v_fma_f64 v[24:25], v[44:45], v[76:77], v[143:144]
	v_fma_f64 v[44:45], v[20:21], v[76:77], -v[78:79]
	v_fma_f64 v[76:77], v[26:27], v[80:81], -v[145:146]
	v_fma_f64 v[26:27], v[42:43], v[80:81], v[82:83]
	v_fma_f64 v[20:21], v[46:47], v[84:85], v[147:148]
	v_fma_f64 v[42:43], v[22:23], v[84:85], -v[86:87]
	v_mul_f64 v[22:23], v[28:29], v[103:104]
	v_mul_f64 v[72:73], v[32:33], v[111:112]
	v_fma_f64 v[84:85], v[16:17], v[88:89], -v[149:150]
	v_fma_f64 v[16:17], v[36:37], v[88:89], v[90:91]
	v_mul_f64 v[46:47], v[30:31], v[107:108]
	v_mul_f64 v[74:75], v[34:35], v[119:120]
	v_fma_f64 v[86:87], v[18:19], v[97:98], -v[151:152]
	v_fma_f64 v[18:19], v[38:39], v[97:98], v[99:100]
	v_mul_f64 v[82:83], v[8:9], v[103:104]
	v_mul_f64 v[88:89], v[10:11], v[107:108]
	;; [unrolled: 1-line block ×8, first 2 shown]
	v_add_f64 v[36:37], v[40:41], v[24:25]
	v_add_f64 v[78:79], v[141:142], v[44:45]
	v_add_f64 v[119:120], v[141:142], -v[44:45]
	v_add_f64 v[38:39], v[26:27], v[20:21]
	v_add_f64 v[80:81], v[76:77], v[42:43]
	v_fma_f64 v[22:23], v[8:9], v[101:102], -v[22:23]
	v_fma_f64 v[12:13], v[12:13], v[109:110], -v[72:73]
	v_add_f64 v[145:146], v[76:77], -v[42:43]
	v_add_f64 v[143:144], v[26:27], -v[20:21]
	v_fma_f64 v[8:9], v[10:11], v[105:106], -v[46:47]
	v_add_f64 v[46:47], v[40:41], -v[24:25]
	v_fma_f64 v[10:11], v[14:15], v[117:118], -v[74:75]
	v_fma_f64 v[74:75], v[28:29], v[101:102], v[82:83]
	v_fma_f64 v[72:73], v[30:31], v[105:106], v[88:89]
	;; [unrolled: 1-line block ×4, first 2 shown]
	v_mul_f64 v[109:110], v[62:63], v[135:136]
	v_fma_f64 v[34:35], v[68:69], v[121:122], v[103:104]
	v_mul_f64 v[116:117], v[64:65], v[139:140]
	v_fma_f64 v[32:33], v[70:71], v[125:126], v[111:112]
	v_mul_f64 v[111:112], v[52:53], v[135:136]
	v_fma_f64 v[123:124], v[36:37], -0.5, v[16:17]
	v_fma_f64 v[127:128], v[78:79], -0.5, v[84:85]
	v_mul_f64 v[36:37], v[66:67], v[131:132]
	v_mul_f64 v[131:132], v[56:57], v[131:132]
	v_fma_f64 v[38:39], v[38:39], -0.5, v[18:19]
	v_fma_f64 v[147:148], v[80:81], -0.5, v[86:87]
	v_fma_f64 v[80:81], v[58:59], v[121:122], -v[99:100]
	v_fma_f64 v[78:79], v[60:61], v[125:126], -v[107:108]
	v_add_f64 v[58:59], v[22:23], v[12:13]
	v_add_f64 v[84:85], v[84:85], v[141:142]
	;; [unrolled: 1-line block ×5, first 2 shown]
	v_add_f64 v[90:91], v[74:75], -v[28:29]
	v_add_f64 v[99:100], v[72:73], -v[14:15]
	v_fma_f64 v[52:53], v[52:53], v[133:134], -v[109:110]
	v_add_f64 v[103:104], v[34:35], v[32:33]
	v_fma_f64 v[70:71], v[119:120], s[10:11], v[123:124]
	v_fma_f64 v[68:69], v[46:47], s[10:11], v[127:128]
	v_fma_f64 v[82:83], v[56:57], v[129:130], -v[36:37]
	v_fma_f64 v[36:37], v[66:67], v[129:130], v[131:132]
	v_fma_f64 v[60:61], v[145:146], s[10:11], v[38:39]
	;; [unrolled: 1-line block ×3, first 2 shown]
	v_add_f64 v[56:57], v[4:5], v[22:23]
	v_add_f64 v[101:102], v[80:81], v[78:79]
	v_fma_f64 v[58:59], v[58:59], -0.5, v[4:5]
	v_fma_f64 v[76:77], v[46:47], s[4:5], v[127:128]
	v_fma_f64 v[66:67], v[119:120], s[4:5], v[123:124]
	;; [unrolled: 1-line block ×3, first 2 shown]
	v_fma_f64 v[88:89], v[88:89], -0.5, v[6:7]
	v_fma_f64 v[6:7], v[143:144], s[4:5], v[147:148]
	v_mul_f64 v[118:119], v[54:55], v[139:140]
	v_add_f64 v[120:121], v[34:35], -v[32:33]
	v_add_f64 v[122:123], v[80:81], -v[78:79]
	v_add_f64 v[44:45], v[84:85], v[44:45]
	v_add_f64 v[84:85], v[97:98], v[10:11]
	;; [unrolled: 1-line block ×3, first 2 shown]
	v_fma_f64 v[54:55], v[54:55], v[137:138], -v[116:117]
	v_mul_f64 v[46:47], v[70:71], s[4:5]
	v_mul_f64 v[105:106], v[68:69], -0.5
	v_fma_f64 v[97:98], v[103:104], -0.5, v[36:37]
	v_mul_f64 v[38:39], v[60:61], s[4:5]
	v_mul_f64 v[107:108], v[30:31], -0.5
	v_add_f64 v[56:57], v[56:57], v[12:13]
	v_fma_f64 v[86:87], v[101:102], -0.5, v[82:83]
	v_fma_f64 v[101:102], v[90:91], s[4:5], v[58:59]
	v_fma_f64 v[90:91], v[90:91], s[10:11], v[58:59]
	;; [unrolled: 1-line block ×3, first 2 shown]
	v_and_b32_e32 v62, 0xffff, v153
	v_fma_f64 v[124:125], v[99:100], s[4:5], v[88:89]
	v_fma_f64 v[88:89], v[99:100], s[10:11], v[88:89]
	v_and_b32_e32 v63, 0xffff, v154
	v_add_f64 v[116:117], v[84:85], v[42:43]
	v_add_f64 v[84:85], v[84:85], -v[42:43]
	v_fma_f64 v[103:104], v[76:77], 0.5, v[46:47]
	v_fma_f64 v[105:106], v[66:67], s[4:5], v[105:106]
	v_fma_f64 v[99:100], v[6:7], 0.5, v[38:39]
	v_fma_f64 v[107:108], v[4:5], s[4:5], v[107:108]
	v_fma_f64 v[38:39], v[64:65], v[137:138], v[118:119]
	v_add_f64 v[109:110], v[56:57], v[44:45]
	v_add_f64 v[111:112], v[56:57], -v[44:45]
	v_fma_f64 v[46:47], v[120:121], s[4:5], v[86:87]
	v_fma_f64 v[42:43], v[120:121], s[10:11], v[86:87]
	;; [unrolled: 1-line block ×4, first 2 shown]
	v_mul_u32_u24_e32 v64, 0x360, v62
	v_mul_u32_u24_e32 v97, 0x360, v63
	v_lshlrev_b32_e32 v65, 3, v155
	v_lshlrev_b32_e32 v98, 3, v156
	v_mul_lo_u16 v63, 0x6c, v157
	v_lshlrev_b32_e32 v62, 3, v158
	s_delay_alu instid0(VALU_DEP_4) | instskip(NEXT) | instid1(VALU_DEP_4)
	v_add3_u32 v65, 0, v64, v65
	v_add3_u32 v64, 0, v97, v98
	v_add_f64 v[86:87], v[101:102], v[103:104]
	v_add_f64 v[118:119], v[90:91], v[105:106]
	v_add_f64 v[101:102], v[101:102], -v[103:104]
	v_add_f64 v[90:91], v[90:91], -v[105:106]
	v_add_f64 v[103:104], v[124:125], v[99:100]
	v_add_f64 v[105:106], v[88:89], v[107:108]
	v_add_f64 v[99:100], v[124:125], -v[99:100]
	v_add_f64 v[88:89], v[88:89], -v[107:108]
	ds_store_2addr_b64 v65, v[109:110], v[86:87] offset1:18
	ds_store_2addr_b64 v65, v[118:119], v[111:112] offset0:36 offset1:54
	ds_store_2addr_b64 v65, v[101:102], v[90:91] offset0:72 offset1:90
	ds_store_2addr_b64 v64, v[116:117], v[103:104] offset1:18
	ds_store_2addr_b64 v64, v[105:106], v[84:85] offset0:36 offset1:54
	ds_store_2addr_b64 v64, v[99:100], v[88:89] offset0:72 offset1:90
	s_and_saveexec_b32 s1, s0
	s_cbranch_execz .LBB0_33
; %bb.32:
	v_add_f64 v[84:85], v[52:53], v[54:55]
	v_add_f64 v[86:87], v[58:59], -v[38:39]
	v_mul_f64 v[88:89], v[42:43], -0.5
	v_add_f64 v[90:91], v[48:49], v[52:53]
	v_add_f64 v[80:81], v[82:83], v[80:81]
	v_mul_f64 v[82:83], v[44:45], s[4:5]
	v_fma_f64 v[48:49], v[84:85], -0.5, v[48:49]
	v_fma_f64 v[84:85], v[56:57], s[4:5], v[88:89]
	v_add_f64 v[88:89], v[90:91], v[54:55]
	v_add_f64 v[78:79], v[80:81], v[78:79]
	v_fma_f64 v[80:81], v[46:47], 0.5, v[82:83]
	v_fma_f64 v[82:83], v[86:87], s[10:11], v[48:49]
	v_fma_f64 v[48:49], v[86:87], s[4:5], v[48:49]
	s_delay_alu instid0(VALU_DEP_4) | instskip(SKIP_1) | instid1(VALU_DEP_4)
	v_add_f64 v[86:87], v[88:89], -v[78:79]
	v_add_f64 v[78:79], v[88:89], v[78:79]
	v_add_f64 v[88:89], v[82:83], -v[84:85]
	s_delay_alu instid0(VALU_DEP_4) | instskip(SKIP_3) | instid1(VALU_DEP_1)
	v_add_f64 v[90:91], v[48:49], v[80:81]
	v_add_f64 v[82:83], v[82:83], v[84:85]
	v_add_f64 v[48:49], v[48:49], -v[80:81]
	v_and_b32_e32 v80, 0xffff, v63
	v_lshlrev_b32_e32 v80, 3, v80
	s_delay_alu instid0(VALU_DEP_1)
	v_add3_u32 v80, 0, v62, v80
	ds_store_2addr_b64 v80, v[78:79], v[90:91] offset1:18
	ds_store_2addr_b64 v80, v[82:83], v[86:87] offset0:36 offset1:54
	ds_store_2addr_b64 v80, v[48:49], v[88:89] offset0:72 offset1:90
.LBB0_33:
	s_or_b32 exec_lo, exec_lo, s1
	v_add_f64 v[48:49], v[74:75], v[28:29]
	v_add_f64 v[78:79], v[72:73], v[14:15]
	;; [unrolled: 1-line block ×3, first 2 shown]
	v_add_f64 v[12:13], v[22:23], -v[12:13]
	v_add_f64 v[16:17], v[16:17], v[40:41]
	v_mul_f64 v[22:23], v[76:77], s[10:11]
	v_add_f64 v[18:19], v[18:19], v[26:27]
	v_mul_f64 v[26:27], v[66:67], -0.5
	v_add_f64 v[40:41], v[2:3], v[72:73]
	v_add_f64 v[8:9], v[8:9], -v[10:11]
	v_mul_f64 v[6:7], v[6:7], s[10:11]
	v_mul_f64 v[4:5], v[4:5], -0.5
	s_waitcnt lgkmcnt(0)
	s_barrier
	buffer_gl0_inv
	v_fma_f64 v[0:1], v[48:49], -0.5, v[0:1]
	v_fma_f64 v[2:3], v[78:79], -0.5, v[2:3]
	v_add_f64 v[10:11], v[74:75], v[28:29]
	v_add_f64 v[16:17], v[16:17], v[24:25]
	v_fma_f64 v[22:23], v[70:71], 0.5, v[22:23]
	v_add_f64 v[18:19], v[18:19], v[20:21]
	v_fma_f64 v[20:21], v[68:69], s[10:11], v[26:27]
	v_add_f64 v[14:15], v[40:41], v[14:15]
	v_fma_f64 v[6:7], v[60:61], 0.5, v[6:7]
	v_fma_f64 v[4:5], v[30:31], s[10:11], v[4:5]
	v_fma_f64 v[24:25], v[12:13], s[10:11], v[0:1]
	;; [unrolled: 1-line block ×5, first 2 shown]
	v_add_f64 v[40:41], v[10:11], v[16:17]
	v_add_f64 v[48:49], v[10:11], -v[16:17]
	v_add_f64 v[60:61], v[14:15], v[18:19]
	v_add_f64 v[66:67], v[14:15], -v[18:19]
	v_add_f64 v[68:69], v[24:25], v[22:23]
	v_add_f64 v[70:71], v[0:1], v[20:21]
	v_add_f64 v[72:73], v[24:25], -v[22:23]
	v_add_f64 v[74:75], v[0:1], -v[20:21]
	v_add_f64 v[76:77], v[12:13], v[6:7]
	v_add_f64 v[78:79], v[2:3], v[4:5]
	v_add_f64 v[80:81], v[12:13], -v[6:7]
	v_add_f64 v[82:83], v[2:3], -v[4:5]
	v_add_nc_u32_e32 v4, 0x400, v115
	v_add_nc_u32_e32 v5, 0xc00, v115
	;; [unrolled: 1-line block ×7, first 2 shown]
	ds_load_2addr_b64 v[0:3], v114 offset1:108
	ds_load_2addr_b64 v[28:31], v4 offset0:88 offset1:196
	ds_load_2addr_b64 v[8:11], v5 offset0:48 offset1:156
	;; [unrolled: 1-line block ×7, first 2 shown]
	s_waitcnt lgkmcnt(0)
	s_barrier
	buffer_gl0_inv
	ds_store_2addr_b64 v65, v[40:41], v[68:69] offset1:18
	ds_store_2addr_b64 v65, v[70:71], v[48:49] offset0:36 offset1:54
	ds_store_2addr_b64 v65, v[72:73], v[74:75] offset0:72 offset1:90
	ds_store_2addr_b64 v64, v[60:61], v[76:77] offset1:18
	ds_store_2addr_b64 v64, v[78:79], v[66:67] offset0:36 offset1:54
	ds_store_2addr_b64 v64, v[80:81], v[82:83] offset0:72 offset1:90
	s_and_saveexec_b32 s1, s0
	s_cbranch_execz .LBB0_35
; %bb.34:
	v_add_f64 v[40:41], v[58:59], v[38:39]
	s_mov_b32 s4, 0xe8584caa
	s_mov_b32 s5, 0xbfebb67a
	v_add_f64 v[48:49], v[50:51], v[58:59]
	v_add_f64 v[52:53], v[52:53], -v[54:55]
	v_add_f64 v[34:35], v[36:37], v[34:35]
	v_mul_f64 v[36:37], v[56:57], -0.5
	v_mul_f64 v[46:47], v[46:47], s[4:5]
	s_mov_b32 s11, 0x3febb67a
	s_mov_b32 s10, s4
	v_fma_f64 v[40:41], v[40:41], -0.5, v[50:51]
	v_add_f64 v[38:39], v[48:49], v[38:39]
	v_add_f64 v[32:33], v[34:35], v[32:33]
	v_fma_f64 v[34:35], v[42:43], s[4:5], v[36:37]
	v_fma_f64 v[36:37], v[44:45], 0.5, v[46:47]
	v_fma_f64 v[42:43], v[52:53], s[4:5], v[40:41]
	v_fma_f64 v[40:41], v[52:53], s[10:11], v[40:41]
	v_add_f64 v[44:45], v[38:39], v[32:33]
	v_add_f64 v[32:33], v[38:39], -v[32:33]
	s_delay_alu instid0(VALU_DEP_4) | instskip(NEXT) | instid1(VALU_DEP_4)
	v_add_f64 v[38:39], v[42:43], v[36:37]
	v_add_f64 v[46:47], v[40:41], v[34:35]
	v_add_f64 v[36:37], v[42:43], -v[36:37]
	v_add_f64 v[34:35], v[40:41], -v[34:35]
	v_and_b32_e32 v40, 0xffff, v63
	s_delay_alu instid0(VALU_DEP_1) | instskip(NEXT) | instid1(VALU_DEP_1)
	v_lshlrev_b32_e32 v40, 3, v40
	v_add3_u32 v40, 0, v62, v40
	ds_store_2addr_b64 v40, v[44:45], v[38:39] offset1:18
	ds_store_2addr_b64 v40, v[46:47], v[32:33] offset0:36 offset1:54
	ds_store_2addr_b64 v40, v[36:37], v[34:35] offset0:72 offset1:90
.LBB0_35:
	s_or_b32 exec_lo, exec_lo, s1
	s_waitcnt lgkmcnt(0)
	s_barrier
	buffer_gl0_inv
	s_and_saveexec_b32 s0, vcc_lo
	s_cbranch_execz .LBB0_37
; %bb.36:
	v_mul_u32_u24_e32 v32, 15, v113
	v_add_nc_u32_e32 v97, 0x400, v115
	v_add_nc_u32_e32 v101, 0x2000, v114
	;; [unrolled: 1-line block ×4, first 2 shown]
	v_lshlrev_b32_e32 v88, 4, v32
	v_add_nc_u32_e32 v113, 0xc00, v115
	v_add_nc_u32_e32 v115, 0x2800, v114
	;; [unrolled: 1-line block ×3, first 2 shown]
	s_mov_b32 s0, 0x667f3bcd
	s_clause 0xe
	global_load_b128 v[32:35], v88, s[8:9] offset:1696
	global_load_b128 v[36:39], v88, s[8:9] offset:1824
	;; [unrolled: 1-line block ×15, first 2 shown]
	ds_load_2addr_b64 v[97:100], v97 offset0:88 offset1:196
	ds_load_2addr_b64 v[101:104], v101 offset0:56 offset1:164
	;; [unrolled: 1-line block ×4, first 2 shown]
	ds_load_2addr_b64 v[116:119], v114 offset1:108
	ds_load_2addr_b64 v[120:123], v113 offset0:48 offset1:156
	ds_load_2addr_b64 v[124:127], v115 offset0:16 offset1:124
	ds_load_2addr_b64 v[128:131], v128 offset0:96 offset1:204
	s_mov_b32 s1, 0x3fe6a09e
	s_mov_b32 s5, 0xbfe6a09e
	;; [unrolled: 1-line block ×11, first 2 shown]
	s_waitcnt vmcnt(14) lgkmcnt(7)
	v_mul_f64 v[132:133], v[97:98], v[34:35]
	v_mul_f64 v[34:35], v[28:29], v[34:35]
	s_waitcnt vmcnt(13) lgkmcnt(6)
	v_mul_f64 v[134:135], v[101:102], v[38:39]
	v_mul_f64 v[38:39], v[24:25], v[38:39]
	s_waitcnt vmcnt(12)
	v_mul_f64 v[136:137], v[16:17], v[42:43]
	s_waitcnt lgkmcnt(5)
	v_mul_f64 v[42:43], v[105:106], v[42:43]
	s_waitcnt vmcnt(11)
	v_mul_f64 v[113:114], v[20:21], v[46:47]
	s_waitcnt lgkmcnt(4)
	v_mul_f64 v[46:47], v[109:110], v[46:47]
	s_waitcnt vmcnt(10)
	v_mul_f64 v[138:139], v[99:100], v[50:51]
	s_waitcnt vmcnt(9)
	;; [unrolled: 2-line block ×4, first 2 shown]
	v_mul_f64 v[144:145], v[4:5], v[62:63]
	s_waitcnt vmcnt(6) lgkmcnt(2)
	v_mul_f64 v[146:147], v[120:121], v[66:67]
	s_waitcnt vmcnt(5) lgkmcnt(1)
	v_mul_f64 v[148:149], v[124:125], v[70:71]
	s_waitcnt vmcnt(4)
	v_mul_f64 v[150:151], v[118:119], v[74:75]
	s_waitcnt vmcnt(3) lgkmcnt(0)
	v_mul_f64 v[152:153], v[130:131], v[78:79]
	s_waitcnt vmcnt(2)
	v_mul_f64 v[154:155], v[10:11], v[82:83]
	v_mul_f64 v[62:63], v[128:129], v[62:63]
	;; [unrolled: 1-line block ×4, first 2 shown]
	v_fma_f64 v[28:29], v[28:29], v[32:33], -v[132:133]
	v_fma_f64 v[32:33], v[32:33], v[97:98], v[34:35]
	s_waitcnt vmcnt(1)
	v_mul_f64 v[34:35], v[14:15], v[86:87]
	s_waitcnt vmcnt(0)
	v_mul_f64 v[97:98], v[22:23], v[90:91]
	v_fma_f64 v[24:25], v[24:25], v[36:37], -v[134:135]
	v_fma_f64 v[36:37], v[36:37], v[101:102], v[38:39]
	v_mul_f64 v[38:39], v[30:31], v[50:51]
	v_mul_f64 v[50:51], v[26:27], v[54:55]
	v_fma_f64 v[54:55], v[105:106], v[40:41], v[136:137]
	v_fma_f64 v[16:17], v[16:17], v[40:41], -v[42:43]
	v_mul_f64 v[40:41], v[107:108], v[58:59]
	v_mul_f64 v[42:43], v[111:112], v[90:91]
	v_fma_f64 v[58:59], v[109:110], v[44:45], v[113:114]
	v_fma_f64 v[20:21], v[20:21], v[44:45], -v[46:47]
	v_mul_f64 v[44:45], v[2:3], v[74:75]
	v_mul_f64 v[46:47], v[6:7], v[78:79]
	;; [unrolled: 1-line block ×4, first 2 shown]
	v_fma_f64 v[30:31], v[30:31], v[48:49], -v[138:139]
	v_fma_f64 v[26:27], v[26:27], v[52:53], -v[140:141]
	v_fma_f64 v[82:83], v[107:108], v[56:57], v[142:143]
	v_fma_f64 v[86:87], v[128:129], v[60:61], v[144:145]
	v_fma_f64 v[8:9], v[8:9], v[64:65], -v[146:147]
	v_fma_f64 v[12:13], v[12:13], v[68:69], -v[148:149]
	;; [unrolled: 1-line block ×4, first 2 shown]
	v_fma_f64 v[90:91], v[122:123], v[80:81], v[154:155]
	v_fma_f64 v[4:5], v[4:5], v[60:61], -v[62:63]
	v_fma_f64 v[34:35], v[126:127], v[84:85], v[34:35]
	v_fma_f64 v[97:98], v[111:112], v[88:89], v[97:98]
	v_add_f64 v[24:25], v[28:29], -v[24:25]
	v_add_f64 v[36:37], v[32:33], -v[36:37]
	v_fma_f64 v[38:39], v[48:49], v[99:100], v[38:39]
	v_fma_f64 v[48:49], v[52:53], v[103:104], v[50:51]
	v_mad_u64_u32 v[99:100], null, s2, v94, 0
	v_fma_f64 v[18:19], v[18:19], v[56:57], -v[40:41]
	v_fma_f64 v[22:23], v[22:23], v[88:89], -v[42:43]
	v_add_f64 v[50:51], v[54:55], -v[58:59]
	v_add_f64 v[20:21], v[16:17], -v[20:21]
	v_fma_f64 v[40:41], v[72:73], v[118:119], v[44:45]
	v_fma_f64 v[42:43], v[76:77], v[130:131], v[46:47]
	v_fma_f64 v[10:11], v[10:11], v[80:81], -v[74:75]
	v_fma_f64 v[14:15], v[14:15], v[84:85], -v[78:79]
	v_fma_f64 v[44:45], v[64:65], v[120:121], v[66:67]
	v_fma_f64 v[46:47], v[68:69], v[124:125], v[70:71]
	v_add_f64 v[26:27], v[30:31], -v[26:27]
	v_add_f64 v[52:53], v[116:117], -v[86:87]
	;; [unrolled: 1-line block ×7, first 2 shown]
	v_fma_f64 v[28:29], v[28:29], 2.0, -v[24:25]
	v_add_f64 v[48:49], v[38:39], -v[48:49]
	v_add_f64 v[22:23], v[18:19], -v[22:23]
	;; [unrolled: 1-line block ×3, first 2 shown]
	v_add_f64 v[62:63], v[36:37], v[20:21]
	v_fma_f64 v[16:17], v[16:17], 2.0, -v[20:21]
	v_add_f64 v[42:43], v[40:41], -v[42:43]
	v_fma_f64 v[20:21], v[54:55], 2.0, -v[50:51]
	v_add_f64 v[14:15], v[10:11], -v[14:15]
	v_add_f64 v[46:47], v[44:45], -v[46:47]
	v_fma_f64 v[30:31], v[30:31], 2.0, -v[26:27]
	v_fma_f64 v[74:75], v[116:117], 2.0, -v[52:53]
	v_add_f64 v[60:61], v[52:53], v[12:13]
	v_fma_f64 v[8:9], v[8:9], 2.0, -v[12:13]
	v_fma_f64 v[2:3], v[2:3], 2.0, -v[6:7]
	;; [unrolled: 1-line block ×3, first 2 shown]
	v_add_f64 v[64:65], v[6:7], -v[34:35]
	v_add_f64 v[66:67], v[26:27], -v[56:57]
	v_fma_f64 v[34:35], v[90:91], 2.0, -v[34:35]
	v_add_f64 v[68:69], v[48:49], v[22:23]
	v_fma_f64 v[18:19], v[18:19], 2.0, -v[22:23]
	v_fma_f64 v[22:23], v[38:39], 2.0, -v[48:49]
	;; [unrolled: 1-line block ×4, first 2 shown]
	v_add_f64 v[16:17], v[28:29], -v[16:17]
	v_add_f64 v[70:71], v[42:43], v[14:15]
	v_fma_f64 v[10:11], v[10:11], 2.0, -v[14:15]
	v_add_f64 v[72:73], v[4:5], -v[46:47]
	v_fma_f64 v[44:45], v[44:45], 2.0, -v[46:47]
	v_fma_f64 v[14:15], v[32:33], 2.0, -v[36:37]
	;; [unrolled: 1-line block ×5, first 2 shown]
	v_fma_f64 v[46:47], v[62:63], s[0:1], v[60:61]
	v_add_f64 v[8:9], v[0:1], -v[8:9]
	v_fma_f64 v[6:7], v[6:7], 2.0, -v[64:65]
	v_fma_f64 v[26:27], v[26:27], 2.0, -v[66:67]
	;; [unrolled: 1-line block ×3, first 2 shown]
	v_fma_f64 v[48:49], v[66:67], s[0:1], v[64:65]
	v_add_f64 v[18:19], v[30:31], -v[18:19]
	v_add_f64 v[34:35], v[38:39], -v[34:35]
	v_fma_f64 v[42:43], v[42:43], 2.0, -v[70:71]
	v_add_f64 v[10:11], v[2:3], -v[10:11]
	v_fma_f64 v[4:5], v[4:5], 2.0, -v[72:73]
	v_add_f64 v[44:45], v[74:75], -v[44:45]
	v_add_f64 v[20:21], v[14:15], -v[20:21]
	v_fma_f64 v[50:51], v[68:69], s[0:1], v[70:71]
	v_fma_f64 v[52:53], v[58:59], s[0:1], v[72:73]
	v_add_f64 v[32:33], v[22:23], -v[32:33]
	v_fma_f64 v[54:55], v[36:37], s[4:5], v[24:25]
	v_fma_f64 v[46:47], v[58:59], s[0:1], v[46:47]
	v_fma_f64 v[0:1], v[0:1], 2.0, -v[8:9]
	v_fma_f64 v[56:57], v[26:27], s[4:5], v[6:7]
	v_fma_f64 v[48:49], v[68:69], s[4:5], v[48:49]
	v_fma_f64 v[30:31], v[30:31], 2.0, -v[18:19]
	v_add_f64 v[18:19], v[34:35], v[18:19]
	v_fma_f64 v[76:77], v[40:41], s[4:5], v[42:43]
	v_fma_f64 v[2:3], v[2:3], 2.0, -v[10:11]
	v_fma_f64 v[78:79], v[12:13], s[4:5], v[4:5]
	v_fma_f64 v[58:59], v[74:75], 2.0, -v[44:45]
	v_fma_f64 v[14:15], v[14:15], 2.0, -v[20:21]
	v_fma_f64 v[50:51], v[66:67], s[0:1], v[50:51]
	v_fma_f64 v[52:53], v[62:63], s[4:5], v[52:53]
	v_add_f64 v[62:63], v[16:17], v[44:45]
	v_add_f64 v[66:67], v[10:11], -v[32:33]
	v_add_f64 v[68:69], v[8:9], -v[20:21]
	v_fma_f64 v[16:17], v[28:29], 2.0, -v[16:17]
	v_fma_f64 v[20:21], v[38:39], 2.0, -v[34:35]
	v_fma_f64 v[22:23], v[22:23], 2.0, -v[32:33]
	v_fma_f64 v[54:55], v[12:13], s[0:1], v[54:55]
	v_fma_f64 v[60:61], v[60:61], 2.0, -v[46:47]
	v_fma_f64 v[28:29], v[40:41], s[4:5], v[56:57]
	v_fma_f64 v[34:35], v[34:35], 2.0, -v[18:19]
	v_fma_f64 v[26:27], v[26:27], s[0:1], v[76:77]
	v_add_f64 v[12:13], v[2:3], -v[30:31]
	v_fma_f64 v[56:57], v[36:37], s[4:5], v[78:79]
	v_add_f64 v[40:41], v[58:59], -v[14:15]
	v_fma_f64 v[14:15], v[64:65], 2.0, -v[48:49]
	v_fma_f64 v[30:31], v[70:71], 2.0, -v[50:51]
	;; [unrolled: 1-line block ×6, first 2 shown]
	v_add_f64 v[72:73], v[0:1], -v[16:17]
	v_add_f64 v[8:9], v[20:21], -v[22:23]
	v_fma_f64 v[74:75], v[24:25], 2.0, -v[54:55]
	v_fma_f64 v[10:11], v[66:67], s[0:1], v[68:69]
	v_fma_f64 v[16:17], v[48:49], s[8:9], v[52:53]
	v_fma_f64 v[36:37], v[6:7], 2.0, -v[28:29]
	v_fma_f64 v[6:7], v[18:19], s[0:1], v[62:63]
	v_fma_f64 v[38:39], v[42:43], 2.0, -v[26:27]
	;; [unrolled: 2-line block ×3, first 2 shown]
	v_fma_f64 v[4:5], v[50:51], s[8:9], v[46:47]
	v_fma_f64 v[24:25], v[28:29], s[10:11], v[56:57]
	v_fma_f64 v[58:59], v[58:59], 2.0, -v[40:41]
	v_fma_f64 v[42:43], v[30:31], s[12:13], v[60:61]
	v_fma_f64 v[78:79], v[34:35], s[4:5], v[44:45]
	v_fma_f64 v[88:89], v[2:3], 2.0, -v[12:13]
	;; [unrolled: 3-line block ×3, first 2 shown]
	v_fma_f64 v[84:85], v[20:21], 2.0, -v[8:9]
	v_mul_lo_u32 v0, s3, v94
	v_mul_lo_u32 v1, s2, v95
	v_add_f64 v[8:9], v[72:73], -v[8:9]
	s_delay_alu instid0(VALU_DEP_2)
	v_add3_u32 v100, v100, v1, v0
	v_fma_f64 v[0:1], v[50:51], s[12:13], v[16:17]
	v_fma_f64 v[6:7], v[66:67], s[0:1], v[6:7]
	;; [unrolled: 1-line block ×7, first 2 shown]
	v_add_f64 v[10:11], v[40:41], v[12:13]
	v_fma_f64 v[14:15], v[14:15], s[8:9], v[42:43]
	v_fma_f64 v[18:19], v[32:33], s[0:1], v[78:79]
	;; [unrolled: 1-line block ×5, first 2 shown]
	v_add_f64 v[24:25], v[86:87], -v[88:89]
	v_add_f64 v[26:27], v[58:59], -v[84:85]
	v_lshlrev_b64 v[32:33], 4, v[99:100]
	v_lshlrev_b64 v[34:35], 4, v[92:93]
	v_fma_f64 v[30:31], v[36:37], s[10:11], v[90:91]
	s_delay_alu instid0(VALU_DEP_3) | instskip(SKIP_3) | instid1(VALU_DEP_4)
	v_add_co_u32 v36, vcc_lo, s6, v32
	v_fma_f64 v[28:29], v[38:39], s[12:13], v[97:98]
	v_mov_b32_e32 v97, 0
	v_add_co_ci_u32_e32 v37, vcc_lo, s7, v33, vcc_lo
	v_add_co_u32 v34, vcc_lo, v36, v34
	s_delay_alu instid0(VALU_DEP_3) | instskip(NEXT) | instid1(VALU_DEP_3)
	v_lshlrev_b64 v[32:33], 4, v[96:97]
	v_add_co_ci_u32_e32 v35, vcc_lo, v37, v35, vcc_lo
	v_fma_f64 v[38:39], v[62:63], 2.0, -v[6:7]
	v_fma_f64 v[36:37], v[68:69], 2.0, -v[4:5]
	;; [unrolled: 1-line block ×3, first 2 shown]
	v_add_co_u32 v66, vcc_lo, v34, v32
	v_add_co_ci_u32_e32 v67, vcc_lo, v35, v33, vcc_lo
	v_fma_f64 v[34:35], v[46:47], 2.0, -v[2:3]
	v_fma_f64 v[32:33], v[52:53], 2.0, -v[0:1]
	;; [unrolled: 1-line block ×11, first 2 shown]
	v_add_co_u32 v64, vcc_lo, 0x1000, v66
	v_add_co_ci_u32_e32 v65, vcc_lo, 0, v67, vcc_lo
	v_add_co_u32 v68, vcc_lo, 0x2000, v66
	v_add_co_ci_u32_e32 v69, vcc_lo, 0, v67, vcc_lo
	v_fma_f64 v[62:63], v[74:75], 2.0, -v[30:31]
	v_add_co_u32 v70, vcc_lo, 0x3000, v66
	v_fma_f64 v[60:61], v[76:77], 2.0, -v[28:29]
	v_add_co_ci_u32_e32 v71, vcc_lo, 0, v67, vcc_lo
	v_add_co_u32 v72, vcc_lo, 0x4000, v66
	v_add_co_ci_u32_e32 v73, vcc_lo, 0, v67, vcc_lo
	v_add_co_u32 v74, vcc_lo, 0x5000, v66
	;; [unrolled: 2-line block ×3, first 2 shown]
	v_add_co_ci_u32_e32 v77, vcc_lo, 0, v67, vcc_lo
	s_clause 0xf
	global_store_b128 v[68:69], v[36:39], off offset:2176
	global_store_b128 v[68:69], v[32:35], off offset:3904
	;; [unrolled: 1-line block ×12, first 2 shown]
	global_store_b128 v[66:67], v[56:59], off
	global_store_b128 v[66:67], v[60:63], off offset:1728
	global_store_b128 v[74:75], v[4:7], off offset:3712
	;; [unrolled: 1-line block ×3, first 2 shown]
.LBB0_37:
	s_nop 0
	s_sendmsg sendmsg(MSG_DEALLOC_VGPRS)
	s_endpgm
	.section	.rodata,"a",@progbits
	.p2align	6, 0x0
	.amdhsa_kernel fft_rtc_fwd_len1728_factors_3_6_6_16_wgs_108_tpt_108_halfLds_dp_op_CI_CI_unitstride_sbrr_dirReg
		.amdhsa_group_segment_fixed_size 0
		.amdhsa_private_segment_fixed_size 0
		.amdhsa_kernarg_size 104
		.amdhsa_user_sgpr_count 15
		.amdhsa_user_sgpr_dispatch_ptr 0
		.amdhsa_user_sgpr_queue_ptr 0
		.amdhsa_user_sgpr_kernarg_segment_ptr 1
		.amdhsa_user_sgpr_dispatch_id 0
		.amdhsa_user_sgpr_private_segment_size 0
		.amdhsa_wavefront_size32 1
		.amdhsa_uses_dynamic_stack 0
		.amdhsa_enable_private_segment 0
		.amdhsa_system_sgpr_workgroup_id_x 1
		.amdhsa_system_sgpr_workgroup_id_y 0
		.amdhsa_system_sgpr_workgroup_id_z 0
		.amdhsa_system_sgpr_workgroup_info 0
		.amdhsa_system_vgpr_workitem_id 0
		.amdhsa_next_free_vgpr 170
		.amdhsa_next_free_sgpr 27
		.amdhsa_reserve_vcc 1
		.amdhsa_float_round_mode_32 0
		.amdhsa_float_round_mode_16_64 0
		.amdhsa_float_denorm_mode_32 3
		.amdhsa_float_denorm_mode_16_64 3
		.amdhsa_dx10_clamp 1
		.amdhsa_ieee_mode 1
		.amdhsa_fp16_overflow 0
		.amdhsa_workgroup_processor_mode 1
		.amdhsa_memory_ordered 1
		.amdhsa_forward_progress 0
		.amdhsa_shared_vgpr_count 0
		.amdhsa_exception_fp_ieee_invalid_op 0
		.amdhsa_exception_fp_denorm_src 0
		.amdhsa_exception_fp_ieee_div_zero 0
		.amdhsa_exception_fp_ieee_overflow 0
		.amdhsa_exception_fp_ieee_underflow 0
		.amdhsa_exception_fp_ieee_inexact 0
		.amdhsa_exception_int_div_zero 0
	.end_amdhsa_kernel
	.text
.Lfunc_end0:
	.size	fft_rtc_fwd_len1728_factors_3_6_6_16_wgs_108_tpt_108_halfLds_dp_op_CI_CI_unitstride_sbrr_dirReg, .Lfunc_end0-fft_rtc_fwd_len1728_factors_3_6_6_16_wgs_108_tpt_108_halfLds_dp_op_CI_CI_unitstride_sbrr_dirReg
                                        ; -- End function
	.section	.AMDGPU.csdata,"",@progbits
; Kernel info:
; codeLenInByte = 10856
; NumSgprs: 29
; NumVgprs: 170
; ScratchSize: 0
; MemoryBound: 1
; FloatMode: 240
; IeeeMode: 1
; LDSByteSize: 0 bytes/workgroup (compile time only)
; SGPRBlocks: 3
; VGPRBlocks: 21
; NumSGPRsForWavesPerEU: 29
; NumVGPRsForWavesPerEU: 170
; Occupancy: 8
; WaveLimiterHint : 1
; COMPUTE_PGM_RSRC2:SCRATCH_EN: 0
; COMPUTE_PGM_RSRC2:USER_SGPR: 15
; COMPUTE_PGM_RSRC2:TRAP_HANDLER: 0
; COMPUTE_PGM_RSRC2:TGID_X_EN: 1
; COMPUTE_PGM_RSRC2:TGID_Y_EN: 0
; COMPUTE_PGM_RSRC2:TGID_Z_EN: 0
; COMPUTE_PGM_RSRC2:TIDIG_COMP_CNT: 0
	.text
	.p2alignl 7, 3214868480
	.fill 96, 4, 3214868480
	.type	__hip_cuid_c4aa082ea6104641,@object ; @__hip_cuid_c4aa082ea6104641
	.section	.bss,"aw",@nobits
	.globl	__hip_cuid_c4aa082ea6104641
__hip_cuid_c4aa082ea6104641:
	.byte	0                               ; 0x0
	.size	__hip_cuid_c4aa082ea6104641, 1

	.ident	"AMD clang version 19.0.0git (https://github.com/RadeonOpenCompute/llvm-project roc-6.4.0 25133 c7fe45cf4b819c5991fe208aaa96edf142730f1d)"
	.section	".note.GNU-stack","",@progbits
	.addrsig
	.addrsig_sym __hip_cuid_c4aa082ea6104641
	.amdgpu_metadata
---
amdhsa.kernels:
  - .args:
      - .actual_access:  read_only
        .address_space:  global
        .offset:         0
        .size:           8
        .value_kind:     global_buffer
      - .offset:         8
        .size:           8
        .value_kind:     by_value
      - .actual_access:  read_only
        .address_space:  global
        .offset:         16
        .size:           8
        .value_kind:     global_buffer
      - .actual_access:  read_only
        .address_space:  global
        .offset:         24
        .size:           8
        .value_kind:     global_buffer
      - .actual_access:  read_only
        .address_space:  global
        .offset:         32
        .size:           8
        .value_kind:     global_buffer
      - .offset:         40
        .size:           8
        .value_kind:     by_value
      - .actual_access:  read_only
        .address_space:  global
        .offset:         48
        .size:           8
        .value_kind:     global_buffer
      - .actual_access:  read_only
        .address_space:  global
        .offset:         56
        .size:           8
        .value_kind:     global_buffer
      - .offset:         64
        .size:           4
        .value_kind:     by_value
      - .actual_access:  read_only
        .address_space:  global
        .offset:         72
        .size:           8
        .value_kind:     global_buffer
      - .actual_access:  read_only
        .address_space:  global
        .offset:         80
        .size:           8
        .value_kind:     global_buffer
      - .actual_access:  read_only
        .address_space:  global
        .offset:         88
        .size:           8
        .value_kind:     global_buffer
      - .actual_access:  write_only
        .address_space:  global
        .offset:         96
        .size:           8
        .value_kind:     global_buffer
    .group_segment_fixed_size: 0
    .kernarg_segment_align: 8
    .kernarg_segment_size: 104
    .language:       OpenCL C
    .language_version:
      - 2
      - 0
    .max_flat_workgroup_size: 108
    .name:           fft_rtc_fwd_len1728_factors_3_6_6_16_wgs_108_tpt_108_halfLds_dp_op_CI_CI_unitstride_sbrr_dirReg
    .private_segment_fixed_size: 0
    .sgpr_count:     29
    .sgpr_spill_count: 0
    .symbol:         fft_rtc_fwd_len1728_factors_3_6_6_16_wgs_108_tpt_108_halfLds_dp_op_CI_CI_unitstride_sbrr_dirReg.kd
    .uniform_work_group_size: 1
    .uses_dynamic_stack: false
    .vgpr_count:     170
    .vgpr_spill_count: 0
    .wavefront_size: 32
    .workgroup_processor_mode: 1
amdhsa.target:   amdgcn-amd-amdhsa--gfx1100
amdhsa.version:
  - 1
  - 2
...

	.end_amdgpu_metadata
